;; amdgpu-corpus repo=ROCm/rocFFT kind=compiled arch=gfx1030 opt=O3
	.text
	.amdgcn_target "amdgcn-amd-amdhsa--gfx1030"
	.amdhsa_code_object_version 6
	.protected	fft_rtc_fwd_len128_factors_8_4_4_wgs_128_tpt_16_sp_op_CI_CI_sbrc_xy_z_aligned ; -- Begin function fft_rtc_fwd_len128_factors_8_4_4_wgs_128_tpt_16_sp_op_CI_CI_sbrc_xy_z_aligned
	.globl	fft_rtc_fwd_len128_factors_8_4_4_wgs_128_tpt_16_sp_op_CI_CI_sbrc_xy_z_aligned
	.p2align	8
	.type	fft_rtc_fwd_len128_factors_8_4_4_wgs_128_tpt_16_sp_op_CI_CI_sbrc_xy_z_aligned,@function
fft_rtc_fwd_len128_factors_8_4_4_wgs_128_tpt_16_sp_op_CI_CI_sbrc_xy_z_aligned: ; @fft_rtc_fwd_len128_factors_8_4_4_wgs_128_tpt_16_sp_op_CI_CI_sbrc_xy_z_aligned
; %bb.0:
	s_clause 0x1
	s_load_dwordx4 s[12:15], s[4:5], 0x10
	s_load_dwordx2 s[26:27], s[4:5], 0x20
	s_waitcnt lgkmcnt(0)
	s_load_dwordx4 s[20:23], s[12:13], 0x8
	s_clause 0x1
	s_load_dwordx4 s[16:19], s[14:15], 0x0
	s_load_dwordx2 s[24:25], s[14:15], 0x10
	s_waitcnt lgkmcnt(0)
	s_add_i32 s0, s22, -1
	s_load_dwordx2 s[22:23], s[4:5], 0x0
	s_lshr_b32 s0, s0, 3
	s_add_i32 s0, s0, 1
	s_mul_i32 s28, s0, s20
	v_cvt_f32_u32_e32 v1, s28
	s_sub_i32 s1, 0, s28
	v_rcp_iflag_f32_e32 v1, v1
	v_mul_f32_e32 v1, 0x4f7ffffe, v1
	v_cvt_u32_f32_e32 v1, v1
	v_readfirstlane_b32 s0, v1
	v_cvt_f32_u32_e32 v1, s20
	s_mul_i32 s1, s1, s0
	s_mul_hi_u32 s1, s0, s1
	s_add_i32 s7, s0, s1
	s_load_dwordx4 s[0:3], s[4:5], 0x58
	s_mul_hi_u32 s7, s6, s7
	s_mul_i32 s8, s7, s28
	s_add_i32 s25, s7, 1
	s_sub_i32 s19, s6, s8
	s_clause 0x1
	s_load_dwordx4 s[8:11], s[26:27], 0x0
	s_load_dwordx2 s[12:13], s[26:27], 0x10
	s_sub_i32 s29, s19, s28
	s_cmp_ge_u32 s19, s28
	s_cselect_b32 s7, s25, s7
	s_waitcnt lgkmcnt(0)
	s_cselect_b32 s11, s29, s19
	s_add_i32 s13, s7, 1
	s_cmp_ge_u32 s11, s28
	s_cselect_b32 s11, s13, s7
	s_mov_b32 s7, 0
	s_mul_i32 s13, s11, s28
	s_mov_b32 s31, s7
	s_sub_i32 s30, s6, s13
	s_mov_b64 s[28:29], 0
	v_cmp_lt_u64_e64 s13, s[30:31], s[20:21]
	s_and_b32 vcc_lo, exec_lo, s13
	s_cbranch_vccnz .LBB0_2
; %bb.1:
	v_rcp_iflag_f32_e32 v2, v1
	s_sub_i32 s19, 0, s20
	v_mul_f32_e32 v2, 0x4f7ffffe, v2
	v_cvt_u32_f32_e32 v2, v2
	v_readfirstlane_b32 s13, v2
	s_mul_i32 s19, s19, s13
	s_mul_hi_u32 s19, s13, s19
	s_add_i32 s13, s13, s19
	s_mul_hi_u32 s13, s30, s13
	s_mul_i32 s19, s13, s20
	s_add_i32 s25, s13, 1
	s_sub_i32 s19, s30, s19
	s_sub_i32 s28, s19, s20
	s_cmp_ge_u32 s19, s20
	s_cselect_b32 s13, s25, s13
	s_cselect_b32 s19, s28, s19
	s_add_i32 s25, s13, 1
	s_cmp_ge_u32 s19, s20
	s_cselect_b32 s28, s25, s13
.LBB0_2:
	v_cmp_lt_u64_e64 s7, s[6:7], s[20:21]
	s_and_b32 vcc_lo, exec_lo, s7
	s_cbranch_vccnz .LBB0_4
; %bb.3:
	v_rcp_iflag_f32_e32 v1, v1
	s_sub_i32 s13, 0, s20
	v_mul_f32_e32 v1, 0x4f7ffffe, v1
	v_cvt_u32_f32_e32 v1, v1
	v_readfirstlane_b32 s7, v1
	s_mul_i32 s13, s13, s7
	s_mul_hi_u32 s13, s7, s13
	s_add_i32 s7, s7, s13
	s_mul_hi_u32 s7, s6, s7
	s_mul_i32 s7, s7, s20
	s_sub_i32 s6, s6, s7
	s_sub_i32 s7, s6, s20
	s_cmp_ge_u32 s6, s20
	s_cselect_b32 s6, s7, s6
	s_sub_i32 s7, s6, s20
	s_cmp_ge_u32 s6, s20
	s_cselect_b32 s6, s7, s6
.LBB0_4:
	s_load_dwordx2 s[20:21], s[4:5], 0x8
	s_lshl_b32 s4, s28, 3
	s_mul_i32 s5, s6, s18
	s_mul_i32 s7, s4, s24
	;; [unrolled: 1-line block ×3, first 2 shown]
	s_mul_hi_u32 s19, s8, s4
	s_add_i32 s18, s5, s7
	s_add_i32 s5, s19, s13
	v_mad_u64_u32 v[1:2], null, s16, v0, 0
	s_mov_b32 s19, 0
	v_and_b32_e32 v21, 15, v0
	s_mov_b32 s25, s19
	v_lshl_add_u32 v19, v0, 3, 0
	v_and_b32_e32 v28, 7, v0
	s_mul_i32 s4, s8, s4
	v_mad_u64_u32 v[2:3], null, s17, v0, v[2:3]
	s_waitcnt lgkmcnt(0)
	s_lshl_b64 s[20:21], s[20:21], 3
	s_add_u32 s14, s14, s20
	s_addc_u32 s15, s15, s21
	v_lshlrev_b64 v[1:2], 3, v[1:2]
	s_load_dwordx2 s[28:29], s[14:15], 0x0
	s_waitcnt lgkmcnt(0)
	s_mul_i32 s7, s29, s11
	s_mul_hi_u32 s13, s28, s11
	s_mul_i32 s28, s28, s11
	s_add_i32 s29, s13, s7
	s_add_u32 s14, s26, s20
	s_addc_u32 s15, s27, s21
	s_lshl_b64 s[16:17], s[28:29], 3
	s_load_dwordx2 s[14:15], s[14:15], 0x0
	s_waitcnt lgkmcnt(0)
	s_mul_i32 s7, s15, s11
	s_mul_hi_u32 s13, s14, s11
	s_add_i32 s7, s13, s7
	s_add_u32 s13, s0, s16
	s_addc_u32 s15, s1, s17
	s_lshl_b64 s[0:1], s[18:19], 3
	s_add_u32 s13, s13, s0
	s_addc_u32 s15, s15, s1
	v_add_co_u32 v1, vcc_lo, s13, v1
	v_add_co_ci_u32_e32 v2, vcc_lo, s15, v2, vcc_lo
	s_lshl_b64 s[16:17], s[24:25], 3
	s_add_i32 s18, s24, s24
	v_add_co_u32 v3, vcc_lo, v1, s16
	s_lshl_b64 s[0:1], s[18:19], 3
	s_add_i32 s18, s18, s24
	v_add_co_ci_u32_e32 v4, vcc_lo, s17, v2, vcc_lo
	v_add_co_u32 v5, vcc_lo, v1, s0
	s_lshl_b64 s[20:21], s[18:19], 3
	s_add_i32 s18, s18, s24
	v_add_co_ci_u32_e32 v6, vcc_lo, s1, v2, vcc_lo
	;; [unrolled: 4-line block ×3, first 2 shown]
	v_add_co_u32 v9, vcc_lo, v1, s26
	s_lshl_b64 s[0:1], s[18:19], 3
	v_add_co_ci_u32_e32 v10, vcc_lo, s27, v2, vcc_lo
	s_add_i32 s18, s18, s24
	v_add_co_u32 v11, vcc_lo, v1, s0
	v_add_co_ci_u32_e32 v12, vcc_lo, s1, v2, vcc_lo
	s_lshl_b64 s[0:1], s[18:19], 3
	s_add_i32 s18, s18, s24
	v_add_co_u32 v13, vcc_lo, v1, s0
	v_add_co_ci_u32_e32 v14, vcc_lo, s1, v2, vcc_lo
	s_lshl_b64 s[0:1], s[18:19], 3
	s_mul_i32 s18, s6, s12
	v_add_co_u32 v15, vcc_lo, v1, s0
	v_add_co_ci_u32_e32 v16, vcc_lo, s1, v2, vcc_lo
	s_clause 0x7
	global_load_dwordx2 v[17:18], v[1:2], off
	global_load_dwordx2 v[3:4], v[3:4], off
	;; [unrolled: 1-line block ×8, first 2 shown]
	v_lshlrev_b32_e32 v1, 6, v0
	v_lshlrev_b32_e32 v2, 3, v21
	s_lshl_b64 s[0:1], s[4:5], 3
	s_mul_i32 s6, s14, s11
	s_add_u32 s2, s2, s0
	v_and_b32_e32 v1, 0x1c00, v1
	s_addc_u32 s3, s3, s1
	s_lshl_b64 s[0:1], s[18:19], 3
	s_waitcnt vmcnt(6)
	ds_write2st64_b64 v19, v[17:18], v[3:4] offset1:2
	s_waitcnt vmcnt(4)
	ds_write2st64_b64 v19, v[5:6], v[7:8] offset0:4 offset1:6
	s_waitcnt vmcnt(2)
	ds_write2st64_b64 v19, v[9:10], v[11:12] offset0:8 offset1:10
	;; [unrolled: 2-line block ×3, first 2 shown]
	v_add_nc_u32_e32 v25, 0, v1
	v_add3_u32 v1, 0, v2, v1
	s_waitcnt lgkmcnt(0)
	s_barrier
	buffer_gl0_inv
	v_add_nc_u32_e32 v2, v25, v2
	ds_read2_b64 v[3:6], v1 offset0:48 offset1:64
	ds_read_b64 v[15:16], v2
	ds_read2_b64 v[7:10], v1 offset0:16 offset1:32
	ds_read2_b64 v[11:14], v1 offset0:80 offset1:96
	ds_read_b64 v[17:18], v1 offset:896
	v_mul_u32_u24_e32 v19, 3, v28
	v_mad_u32_u24 v20, v21, 56, v1
	s_waitcnt lgkmcnt(0)
	s_barrier
	buffer_gl0_inv
	v_lshlrev_b32_e32 v19, 3, v19
	s_add_u32 s2, s2, s0
	s_addc_u32 s3, s3, s1
	s_lshl_b64 s[0:1], s[6:7], 3
	s_add_u32 s0, s2, s0
	s_addc_u32 s1, s3, s1
	s_lshl_b32 s2, s10, 4
	v_sub_f32_e32 v5, v15, v5
	v_sub_f32_e32 v6, v16, v6
	;; [unrolled: 1-line block ×8, first 2 shown]
	v_fma_f32 v15, v15, 2.0, -v5
	v_fma_f32 v16, v16, 2.0, -v6
	;; [unrolled: 1-line block ×8, first 2 shown]
	v_sub_f32_e32 v14, v5, v14
	v_add_f32_e32 v22, v6, v13
	v_sub_f32_e32 v13, v11, v18
	v_add_f32_e32 v17, v12, v17
	v_sub_f32_e32 v18, v15, v9
	v_sub_f32_e32 v23, v16, v10
	v_fma_f32 v24, v5, 2.0, -v14
	v_fma_f32 v26, v6, 2.0, -v22
	v_sub_f32_e32 v9, v7, v3
	v_sub_f32_e32 v10, v8, v4
	v_fma_f32 v11, v11, 2.0, -v13
	v_fma_f32 v12, v12, 2.0, -v17
	v_fmamk_f32 v3, v13, 0x3f3504f3, v14
	v_fmamk_f32 v4, v17, 0x3f3504f3, v22
	v_fma_f32 v15, v15, 2.0, -v18
	v_fma_f32 v16, v16, 2.0, -v23
	;; [unrolled: 1-line block ×4, first 2 shown]
	v_fmamk_f32 v5, v11, 0xbf3504f3, v24
	v_fmamk_f32 v6, v12, 0xbf3504f3, v26
	v_sub_f32_e32 v7, v18, v10
	v_add_f32_e32 v8, v23, v9
	v_fmac_f32_e32 v3, 0xbf3504f3, v17
	v_fmac_f32_e32 v4, 0x3f3504f3, v13
	v_sub_f32_e32 v9, v15, v27
	v_sub_f32_e32 v10, v16, v29
	v_fmac_f32_e32 v5, 0xbf3504f3, v12
	v_fmac_f32_e32 v6, 0x3f3504f3, v11
	v_fma_f32 v11, v18, 2.0, -v7
	v_fma_f32 v12, v23, 2.0, -v8
	;; [unrolled: 1-line block ×8, first 2 shown]
	ds_write2_b64 v20, v[7:8], v[3:4] offset0:6 offset1:7
	ds_write2_b64 v20, v[11:12], v[13:14] offset0:2 offset1:3
	;; [unrolled: 1-line block ×3, first 2 shown]
	ds_write2_b64 v20, v[15:16], v[17:18] offset1:1
	s_waitcnt lgkmcnt(0)
	s_barrier
	buffer_gl0_inv
	s_clause 0x1
	global_load_dwordx4 v[3:6], v19, s[22:23]
	global_load_dwordx2 v[19:20], v19, s[22:23] offset:16
	ds_read2_b64 v[7:10], v1 offset0:16 offset1:32
	v_lshlrev_b32_e32 v23, 2, v0
	ds_read2_b64 v[11:14], v1 offset0:48 offset1:64
	ds_read2_b64 v[15:18], v1 offset0:80 offset1:96
	v_mul_u32_u24_e32 v26, 3, v21
	ds_read_b64 v[21:22], v1 offset:896
	v_or_b32_e32 v24, 64, v23
	v_and_or_b32 v27, v23, 32, v28
	v_lshlrev_b32_e32 v26, 3, v26
	v_and_or_b32 v29, 0x60, v24, v28
	ds_read_b64 v[23:24], v2
	v_lshl_add_u32 v27, v27, 3, v25
	s_waitcnt vmcnt(0) lgkmcnt(0)
	s_barrier
	v_lshl_add_u32 v25, v29, 3, v25
	buffer_gl0_inv
	v_mul_f32_e32 v29, v4, v10
	v_mul_f32_e32 v30, v4, v9
	;; [unrolled: 1-line block ×12, first 2 shown]
	v_fma_f32 v9, v3, v9, -v29
	v_fmac_f32_e32 v30, v3, v10
	v_fma_f32 v10, v5, v13, -v31
	v_fmac_f32_e32 v32, v5, v14
	;; [unrolled: 2-line block ×6, first 2 shown]
	v_sub_f32_e32 v10, v23, v10
	v_sub_f32_e32 v12, v24, v32
	;; [unrolled: 1-line block ×8, first 2 shown]
	v_fma_f32 v17, v23, 2.0, -v10
	v_fma_f32 v18, v24, 2.0, -v12
	;; [unrolled: 1-line block ×4, first 2 shown]
	v_sub_f32_e32 v3, v10, v13
	v_add_f32_e32 v4, v12, v5
	v_fma_f32 v20, v7, 2.0, -v14
	v_fma_f32 v21, v8, 2.0, -v15
	;; [unrolled: 1-line block ×4, first 2 shown]
	v_sub_f32_e32 v5, v14, v16
	v_add_f32_e32 v6, v15, v6
	v_sub_f32_e32 v7, v17, v9
	v_sub_f32_e32 v8, v18, v19
	v_fma_f32 v9, v10, 2.0, -v3
	v_fma_f32 v10, v12, 2.0, -v4
	v_sub_f32_e32 v11, v20, v11
	v_sub_f32_e32 v12, v21, v13
	v_fma_f32 v13, v14, 2.0, -v5
	v_fma_f32 v14, v15, 2.0, -v6
	v_fma_f32 v15, v17, 2.0, -v7
	v_fma_f32 v16, v18, 2.0, -v8
	v_fma_f32 v17, v20, 2.0, -v11
	v_fma_f32 v18, v21, 2.0, -v12
	ds_write2_b64 v27, v[7:8], v[3:4] offset0:16 offset1:24
	ds_write2_b64 v25, v[11:12], v[5:6] offset0:16 offset1:24
	ds_write2_b64 v27, v[15:16], v[9:10] offset1:8
	ds_write2_b64 v25, v[17:18], v[13:14] offset1:8
	s_waitcnt lgkmcnt(0)
	s_barrier
	buffer_gl0_inv
	s_clause 0x3
	global_load_dwordx4 v[3:6], v26, s[22:23] offset:192
	global_load_dwordx2 v[23:24], v26, s[22:23] offset:208
	global_load_dwordx4 v[7:10], v26, s[22:23] offset:576
	global_load_dwordx2 v[25:26], v26, s[22:23] offset:592
	v_mad_u64_u32 v[11:12], null, s8, v28, 0
	v_lshrrev_b32_e32 v13, 3, v0
	v_and_b32_e32 v0, 0x78, v0
	v_lshlrev_b32_e32 v14, 10, v28
	ds_read2_b64 v[19:22], v1 offset0:80 offset1:96
	ds_read2_b32 v[39:40], v1 offset0:224 offset1:225
	v_mul_lo_u32 v27, v13, s10
	v_mad_u64_u32 v[12:13], null, s9, v28, v[12:13]
	v_mov_b32_e32 v28, 0
	v_or_b32_e32 v15, v14, v0
	v_add3_u32 v45, 0, v14, v0
	ds_read_b64 v[43:44], v2
	v_lshlrev_b64 v[13:14], 3, v[27:28]
	v_lshlrev_b64 v[11:12], 3, v[11:12]
	v_add_nc_u32_e32 v27, s2, v27
	v_add_nc_u32_e32 v0, 0, v15
	v_add_co_u32 v46, vcc_lo, s0, v11
	v_add_co_ci_u32_e32 v47, vcc_lo, s1, v12, vcc_lo
	v_lshlrev_b64 v[11:12], 3, v[27:28]
	v_add_nc_u32_e32 v27, s2, v27
	v_add_co_u32 v29, vcc_lo, v46, v13
	v_add_co_ci_u32_e32 v30, vcc_lo, v47, v14, vcc_lo
	v_lshlrev_b64 v[15:16], 3, v[27:28]
	v_add_co_u32 v31, vcc_lo, v46, v11
	v_add_co_ci_u32_e32 v32, vcc_lo, v47, v12, vcc_lo
	ds_read2_b64 v[11:14], v1 offset0:16 offset1:32
	v_add_co_u32 v35, vcc_lo, v46, v15
	v_add_co_ci_u32_e32 v36, vcc_lo, v47, v16, vcc_lo
	ds_read2_b64 v[15:18], v1 offset0:48 offset1:64
	v_add_nc_u32_e32 v27, s2, v27
	s_waitcnt vmcnt(0) lgkmcnt(0)
	s_barrier
	buffer_gl0_inv
	v_lshlrev_b64 v[33:34], 3, v[27:28]
	v_add_nc_u32_e32 v27, s2, v27
	v_lshlrev_b64 v[37:38], 3, v[27:28]
	v_add_nc_u32_e32 v27, s2, v27
	v_add_co_u32 v33, vcc_lo, v46, v33
	v_add_co_ci_u32_e32 v34, vcc_lo, v47, v34, vcc_lo
	v_lshlrev_b64 v[41:42], 3, v[27:28]
	v_add_nc_u32_e32 v27, s2, v27
	v_add_co_u32 v37, vcc_lo, v46, v37
	v_add_co_ci_u32_e32 v38, vcc_lo, v47, v38, vcc_lo
	v_mul_f32_e32 v2, v4, v14
	v_mul_f32_e32 v4, v4, v13
	;; [unrolled: 1-line block ×12, first 2 shown]
	v_fma_f32 v2, v3, v13, -v2
	v_fmac_f32_e32 v4, v3, v14
	v_fma_f32 v3, v5, v17, -v48
	v_fmac_f32_e32 v6, v5, v18
	;; [unrolled: 2-line block ×6, first 2 shown]
	v_sub_f32_e32 v14, v43, v3
	v_sub_f32_e32 v15, v44, v6
	;; [unrolled: 1-line block ×8, first 2 shown]
	v_fma_f32 v18, v43, 2.0, -v14
	v_fma_f32 v19, v44, 2.0, -v15
	;; [unrolled: 1-line block ×8, first 2 shown]
	v_sub_f32_e32 v2, v14, v5
	v_add_f32_e32 v3, v15, v3
	v_sub_f32_e32 v4, v16, v7
	v_add_f32_e32 v5, v17, v6
	v_sub_f32_e32 v6, v18, v9
	v_sub_f32_e32 v7, v19, v10
	;; [unrolled: 1-line block ×4, first 2 shown]
	v_fma_f32 v8, v14, 2.0, -v2
	v_fma_f32 v9, v15, 2.0, -v3
	;; [unrolled: 1-line block ×8, first 2 shown]
	ds_write2_b64 v1, v[2:3], v[4:5] offset0:96 offset1:112
	ds_write2_b64 v1, v[8:9], v[12:13] offset0:32 offset1:48
	;; [unrolled: 1-line block ×3, first 2 shown]
	ds_write2_b64 v1, v[14:15], v[16:17] offset1:16
	s_waitcnt lgkmcnt(0)
	s_barrier
	buffer_gl0_inv
	ds_read_b64 v[12:13], v0
	ds_read2_b64 v[0:3], v45 offset0:16 offset1:32
	ds_read2_b64 v[4:7], v45 offset0:48 offset1:64
	;; [unrolled: 1-line block ×3, first 2 shown]
	ds_read_b64 v[16:17], v45 offset:896
	v_lshlrev_b64 v[14:15], 3, v[27:28]
	v_add_nc_u32_e32 v27, s2, v27
	v_add_co_u32 v18, vcc_lo, v46, v41
	v_add_co_ci_u32_e32 v19, vcc_lo, v47, v42, vcc_lo
	v_lshlrev_b64 v[20:21], 3, v[27:28]
	v_add_co_u32 v14, vcc_lo, v46, v14
	v_add_co_ci_u32_e32 v15, vcc_lo, v47, v15, vcc_lo
	v_add_co_u32 v20, vcc_lo, v46, v20
	v_add_co_ci_u32_e32 v21, vcc_lo, v47, v21, vcc_lo
	s_waitcnt lgkmcnt(4)
	global_store_dwordx2 v[29:30], v[12:13], off
	s_waitcnt lgkmcnt(3)
	global_store_dwordx2 v[31:32], v[0:1], off
	global_store_dwordx2 v[35:36], v[2:3], off
	s_waitcnt lgkmcnt(2)
	global_store_dwordx2 v[33:34], v[4:5], off
	;; [unrolled: 3-line block ×4, first 2 shown]
	s_endpgm
	.section	.rodata,"a",@progbits
	.p2align	6, 0x0
	.amdhsa_kernel fft_rtc_fwd_len128_factors_8_4_4_wgs_128_tpt_16_sp_op_CI_CI_sbrc_xy_z_aligned
		.amdhsa_group_segment_fixed_size 0
		.amdhsa_private_segment_fixed_size 0
		.amdhsa_kernarg_size 104
		.amdhsa_user_sgpr_count 6
		.amdhsa_user_sgpr_private_segment_buffer 1
		.amdhsa_user_sgpr_dispatch_ptr 0
		.amdhsa_user_sgpr_queue_ptr 0
		.amdhsa_user_sgpr_kernarg_segment_ptr 1
		.amdhsa_user_sgpr_dispatch_id 0
		.amdhsa_user_sgpr_flat_scratch_init 0
		.amdhsa_user_sgpr_private_segment_size 0
		.amdhsa_wavefront_size32 1
		.amdhsa_uses_dynamic_stack 0
		.amdhsa_system_sgpr_private_segment_wavefront_offset 0
		.amdhsa_system_sgpr_workgroup_id_x 1
		.amdhsa_system_sgpr_workgroup_id_y 0
		.amdhsa_system_sgpr_workgroup_id_z 0
		.amdhsa_system_sgpr_workgroup_info 0
		.amdhsa_system_vgpr_workitem_id 0
		.amdhsa_next_free_vgpr 53
		.amdhsa_next_free_sgpr 32
		.amdhsa_reserve_vcc 1
		.amdhsa_reserve_flat_scratch 0
		.amdhsa_float_round_mode_32 0
		.amdhsa_float_round_mode_16_64 0
		.amdhsa_float_denorm_mode_32 3
		.amdhsa_float_denorm_mode_16_64 3
		.amdhsa_dx10_clamp 1
		.amdhsa_ieee_mode 1
		.amdhsa_fp16_overflow 0
		.amdhsa_workgroup_processor_mode 1
		.amdhsa_memory_ordered 1
		.amdhsa_forward_progress 0
		.amdhsa_shared_vgpr_count 0
		.amdhsa_exception_fp_ieee_invalid_op 0
		.amdhsa_exception_fp_denorm_src 0
		.amdhsa_exception_fp_ieee_div_zero 0
		.amdhsa_exception_fp_ieee_overflow 0
		.amdhsa_exception_fp_ieee_underflow 0
		.amdhsa_exception_fp_ieee_inexact 0
		.amdhsa_exception_int_div_zero 0
	.end_amdhsa_kernel
	.text
.Lfunc_end0:
	.size	fft_rtc_fwd_len128_factors_8_4_4_wgs_128_tpt_16_sp_op_CI_CI_sbrc_xy_z_aligned, .Lfunc_end0-fft_rtc_fwd_len128_factors_8_4_4_wgs_128_tpt_16_sp_op_CI_CI_sbrc_xy_z_aligned
                                        ; -- End function
	.section	.AMDGPU.csdata,"",@progbits
; Kernel info:
; codeLenInByte = 2744
; NumSgprs: 34
; NumVgprs: 53
; ScratchSize: 0
; MemoryBound: 0
; FloatMode: 240
; IeeeMode: 1
; LDSByteSize: 0 bytes/workgroup (compile time only)
; SGPRBlocks: 4
; VGPRBlocks: 6
; NumSGPRsForWavesPerEU: 34
; NumVGPRsForWavesPerEU: 53
; Occupancy: 16
; WaveLimiterHint : 1
; COMPUTE_PGM_RSRC2:SCRATCH_EN: 0
; COMPUTE_PGM_RSRC2:USER_SGPR: 6
; COMPUTE_PGM_RSRC2:TRAP_HANDLER: 0
; COMPUTE_PGM_RSRC2:TGID_X_EN: 1
; COMPUTE_PGM_RSRC2:TGID_Y_EN: 0
; COMPUTE_PGM_RSRC2:TGID_Z_EN: 0
; COMPUTE_PGM_RSRC2:TIDIG_COMP_CNT: 0
	.text
	.p2alignl 6, 3214868480
	.fill 48, 4, 3214868480
	.type	__hip_cuid_3376bc82a1e01387,@object ; @__hip_cuid_3376bc82a1e01387
	.section	.bss,"aw",@nobits
	.globl	__hip_cuid_3376bc82a1e01387
__hip_cuid_3376bc82a1e01387:
	.byte	0                               ; 0x0
	.size	__hip_cuid_3376bc82a1e01387, 1

	.ident	"AMD clang version 19.0.0git (https://github.com/RadeonOpenCompute/llvm-project roc-6.4.0 25133 c7fe45cf4b819c5991fe208aaa96edf142730f1d)"
	.section	".note.GNU-stack","",@progbits
	.addrsig
	.addrsig_sym __hip_cuid_3376bc82a1e01387
	.amdgpu_metadata
---
amdhsa.kernels:
  - .args:
      - .actual_access:  read_only
        .address_space:  global
        .offset:         0
        .size:           8
        .value_kind:     global_buffer
      - .offset:         8
        .size:           8
        .value_kind:     by_value
      - .actual_access:  read_only
        .address_space:  global
        .offset:         16
        .size:           8
        .value_kind:     global_buffer
      - .actual_access:  read_only
        .address_space:  global
        .offset:         24
        .size:           8
        .value_kind:     global_buffer
      - .actual_access:  read_only
        .address_space:  global
        .offset:         32
        .size:           8
        .value_kind:     global_buffer
      - .offset:         40
        .size:           8
        .value_kind:     by_value
      - .actual_access:  read_only
        .address_space:  global
        .offset:         48
        .size:           8
        .value_kind:     global_buffer
      - .actual_access:  read_only
        .address_space:  global
        .offset:         56
        .size:           8
        .value_kind:     global_buffer
      - .offset:         64
        .size:           4
        .value_kind:     by_value
      - .actual_access:  read_only
        .address_space:  global
        .offset:         72
        .size:           8
        .value_kind:     global_buffer
      - .actual_access:  read_only
        .address_space:  global
        .offset:         80
        .size:           8
        .value_kind:     global_buffer
      - .actual_access:  read_only
        .address_space:  global
        .offset:         88
        .size:           8
        .value_kind:     global_buffer
      - .actual_access:  write_only
        .address_space:  global
        .offset:         96
        .size:           8
        .value_kind:     global_buffer
    .group_segment_fixed_size: 0
    .kernarg_segment_align: 8
    .kernarg_segment_size: 104
    .language:       OpenCL C
    .language_version:
      - 2
      - 0
    .max_flat_workgroup_size: 128
    .name:           fft_rtc_fwd_len128_factors_8_4_4_wgs_128_tpt_16_sp_op_CI_CI_sbrc_xy_z_aligned
    .private_segment_fixed_size: 0
    .sgpr_count:     34
    .sgpr_spill_count: 0
    .symbol:         fft_rtc_fwd_len128_factors_8_4_4_wgs_128_tpt_16_sp_op_CI_CI_sbrc_xy_z_aligned.kd
    .uniform_work_group_size: 1
    .uses_dynamic_stack: false
    .vgpr_count:     53
    .vgpr_spill_count: 0
    .wavefront_size: 32
    .workgroup_processor_mode: 1
amdhsa.target:   amdgcn-amd-amdhsa--gfx1030
amdhsa.version:
  - 1
  - 2
...

	.end_amdgpu_metadata
